;; amdgpu-corpus repo=ROCm/rocFFT kind=compiled arch=gfx906 opt=O3
	.text
	.amdgcn_target "amdgcn-amd-amdhsa--gfx906"
	.amdhsa_code_object_version 6
	.protected	fft_rtc_back_len726_factors_11_6_11_wgs_132_tpt_66_half_op_CI_CI_unitstride_sbrr_R2C_dirReg ; -- Begin function fft_rtc_back_len726_factors_11_6_11_wgs_132_tpt_66_half_op_CI_CI_unitstride_sbrr_R2C_dirReg
	.globl	fft_rtc_back_len726_factors_11_6_11_wgs_132_tpt_66_half_op_CI_CI_unitstride_sbrr_R2C_dirReg
	.p2align	8
	.type	fft_rtc_back_len726_factors_11_6_11_wgs_132_tpt_66_half_op_CI_CI_unitstride_sbrr_R2C_dirReg,@function
fft_rtc_back_len726_factors_11_6_11_wgs_132_tpt_66_half_op_CI_CI_unitstride_sbrr_R2C_dirReg: ; @fft_rtc_back_len726_factors_11_6_11_wgs_132_tpt_66_half_op_CI_CI_unitstride_sbrr_R2C_dirReg
; %bb.0:
	s_load_dwordx4 s[8:11], s[4:5], 0x58
	s_load_dwordx4 s[12:15], s[4:5], 0x0
	;; [unrolled: 1-line block ×3, first 2 shown]
	v_mul_u32_u24_e32 v1, 0x3e1, v0
	v_lshrrev_b32_e32 v7, 16, v1
	v_mov_b32_e32 v5, 0
	s_waitcnt lgkmcnt(0)
	v_cmp_lt_u64_e64 s[0:1], s[14:15], 2
	v_mov_b32_e32 v8, 0
	v_lshl_add_u32 v10, s6, 1, v7
	v_mov_b32_e32 v11, v5
	s_and_b64 vcc, exec, s[0:1]
	v_mov_b32_e32 v9, 0
	s_cbranch_vccnz .LBB0_8
; %bb.1:
	s_load_dwordx2 s[0:1], s[4:5], 0x10
	s_add_u32 s2, s18, 8
	s_addc_u32 s3, s19, 0
	s_add_u32 s6, s16, 8
	s_addc_u32 s7, s17, 0
	v_mov_b32_e32 v8, 0
	s_waitcnt lgkmcnt(0)
	s_add_u32 s20, s0, 8
	v_mov_b32_e32 v9, 0
	v_mov_b32_e32 v1, v8
	s_addc_u32 s21, s1, 0
	s_mov_b64 s[22:23], 1
	v_mov_b32_e32 v2, v9
.LBB0_2:                                ; =>This Inner Loop Header: Depth=1
	s_load_dwordx2 s[24:25], s[20:21], 0x0
                                        ; implicit-def: $vgpr3_vgpr4
	s_waitcnt lgkmcnt(0)
	v_or_b32_e32 v6, s25, v11
	v_cmp_ne_u64_e32 vcc, 0, v[5:6]
	s_and_saveexec_b64 s[0:1], vcc
	s_xor_b64 s[26:27], exec, s[0:1]
	s_cbranch_execz .LBB0_4
; %bb.3:                                ;   in Loop: Header=BB0_2 Depth=1
	v_cvt_f32_u32_e32 v3, s24
	v_cvt_f32_u32_e32 v4, s25
	s_sub_u32 s0, 0, s24
	s_subb_u32 s1, 0, s25
	v_mac_f32_e32 v3, 0x4f800000, v4
	v_rcp_f32_e32 v3, v3
	v_mul_f32_e32 v3, 0x5f7ffffc, v3
	v_mul_f32_e32 v4, 0x2f800000, v3
	v_trunc_f32_e32 v4, v4
	v_mac_f32_e32 v3, 0xcf800000, v4
	v_cvt_u32_f32_e32 v4, v4
	v_cvt_u32_f32_e32 v3, v3
	v_mul_lo_u32 v6, s0, v4
	v_mul_hi_u32 v12, s0, v3
	v_mul_lo_u32 v14, s1, v3
	v_mul_lo_u32 v13, s0, v3
	v_add_u32_e32 v6, v12, v6
	v_add_u32_e32 v6, v6, v14
	v_mul_hi_u32 v12, v3, v13
	v_mul_lo_u32 v14, v3, v6
	v_mul_hi_u32 v16, v3, v6
	v_mul_hi_u32 v15, v4, v13
	v_mul_lo_u32 v13, v4, v13
	v_mul_hi_u32 v17, v4, v6
	v_add_co_u32_e32 v12, vcc, v12, v14
	v_addc_co_u32_e32 v14, vcc, 0, v16, vcc
	v_mul_lo_u32 v6, v4, v6
	v_add_co_u32_e32 v12, vcc, v12, v13
	v_addc_co_u32_e32 v12, vcc, v14, v15, vcc
	v_addc_co_u32_e32 v13, vcc, 0, v17, vcc
	v_add_co_u32_e32 v6, vcc, v12, v6
	v_addc_co_u32_e32 v12, vcc, 0, v13, vcc
	v_add_co_u32_e32 v3, vcc, v3, v6
	v_addc_co_u32_e32 v4, vcc, v4, v12, vcc
	v_mul_lo_u32 v6, s0, v4
	v_mul_hi_u32 v12, s0, v3
	v_mul_lo_u32 v13, s1, v3
	v_mul_lo_u32 v14, s0, v3
	v_add_u32_e32 v6, v12, v6
	v_add_u32_e32 v6, v6, v13
	v_mul_lo_u32 v15, v3, v6
	v_mul_hi_u32 v16, v3, v14
	v_mul_hi_u32 v17, v3, v6
	;; [unrolled: 1-line block ×3, first 2 shown]
	v_mul_lo_u32 v14, v4, v14
	v_mul_hi_u32 v12, v4, v6
	v_add_co_u32_e32 v15, vcc, v16, v15
	v_addc_co_u32_e32 v16, vcc, 0, v17, vcc
	v_mul_lo_u32 v6, v4, v6
	v_add_co_u32_e32 v14, vcc, v15, v14
	v_addc_co_u32_e32 v13, vcc, v16, v13, vcc
	v_addc_co_u32_e32 v12, vcc, 0, v12, vcc
	v_add_co_u32_e32 v6, vcc, v13, v6
	v_addc_co_u32_e32 v12, vcc, 0, v12, vcc
	v_add_co_u32_e32 v6, vcc, v3, v6
	v_addc_co_u32_e32 v12, vcc, v4, v12, vcc
	v_mad_u64_u32 v[3:4], s[0:1], v10, v12, 0
	v_mul_hi_u32 v13, v10, v6
	v_add_co_u32_e32 v14, vcc, v13, v3
	v_addc_co_u32_e32 v15, vcc, 0, v4, vcc
	v_mad_u64_u32 v[3:4], s[0:1], v11, v6, 0
	v_mad_u64_u32 v[12:13], s[0:1], v11, v12, 0
	v_add_co_u32_e32 v3, vcc, v14, v3
	v_addc_co_u32_e32 v3, vcc, v15, v4, vcc
	v_addc_co_u32_e32 v4, vcc, 0, v13, vcc
	v_add_co_u32_e32 v6, vcc, v3, v12
	v_addc_co_u32_e32 v12, vcc, 0, v4, vcc
	v_mul_lo_u32 v13, s25, v6
	v_mul_lo_u32 v14, s24, v12
	v_mad_u64_u32 v[3:4], s[0:1], s24, v6, 0
	v_add3_u32 v4, v4, v14, v13
	v_sub_u32_e32 v13, v11, v4
	v_mov_b32_e32 v14, s25
	v_sub_co_u32_e32 v3, vcc, v10, v3
	v_subb_co_u32_e64 v13, s[0:1], v13, v14, vcc
	v_subrev_co_u32_e64 v14, s[0:1], s24, v3
	v_subbrev_co_u32_e64 v13, s[0:1], 0, v13, s[0:1]
	v_cmp_le_u32_e64 s[0:1], s25, v13
	v_cndmask_b32_e64 v15, 0, -1, s[0:1]
	v_cmp_le_u32_e64 s[0:1], s24, v14
	v_cndmask_b32_e64 v14, 0, -1, s[0:1]
	v_cmp_eq_u32_e64 s[0:1], s25, v13
	v_cndmask_b32_e64 v13, v15, v14, s[0:1]
	v_add_co_u32_e64 v14, s[0:1], 2, v6
	v_addc_co_u32_e64 v15, s[0:1], 0, v12, s[0:1]
	v_add_co_u32_e64 v16, s[0:1], 1, v6
	v_addc_co_u32_e64 v17, s[0:1], 0, v12, s[0:1]
	v_subb_co_u32_e32 v4, vcc, v11, v4, vcc
	v_cmp_ne_u32_e64 s[0:1], 0, v13
	v_cmp_le_u32_e32 vcc, s25, v4
	v_cndmask_b32_e64 v13, v17, v15, s[0:1]
	v_cndmask_b32_e64 v15, 0, -1, vcc
	v_cmp_le_u32_e32 vcc, s24, v3
	v_cndmask_b32_e64 v3, 0, -1, vcc
	v_cmp_eq_u32_e32 vcc, s25, v4
	v_cndmask_b32_e32 v3, v15, v3, vcc
	v_cmp_ne_u32_e32 vcc, 0, v3
	v_cndmask_b32_e64 v3, v16, v14, s[0:1]
	v_cndmask_b32_e32 v4, v12, v13, vcc
	v_cndmask_b32_e32 v3, v6, v3, vcc
.LBB0_4:                                ;   in Loop: Header=BB0_2 Depth=1
	s_andn2_saveexec_b64 s[0:1], s[26:27]
	s_cbranch_execz .LBB0_6
; %bb.5:                                ;   in Loop: Header=BB0_2 Depth=1
	v_cvt_f32_u32_e32 v3, s24
	s_sub_i32 s26, 0, s24
	v_rcp_iflag_f32_e32 v3, v3
	v_mul_f32_e32 v3, 0x4f7ffffe, v3
	v_cvt_u32_f32_e32 v3, v3
	v_mul_lo_u32 v4, s26, v3
	v_mul_hi_u32 v4, v3, v4
	v_add_u32_e32 v3, v3, v4
	v_mul_hi_u32 v3, v10, v3
	v_mul_lo_u32 v4, v3, s24
	v_add_u32_e32 v6, 1, v3
	v_sub_u32_e32 v4, v10, v4
	v_subrev_u32_e32 v12, s24, v4
	v_cmp_le_u32_e32 vcc, s24, v4
	v_cndmask_b32_e32 v4, v4, v12, vcc
	v_cndmask_b32_e32 v3, v3, v6, vcc
	v_add_u32_e32 v6, 1, v3
	v_cmp_le_u32_e32 vcc, s24, v4
	v_cndmask_b32_e32 v3, v3, v6, vcc
	v_mov_b32_e32 v4, v5
.LBB0_6:                                ;   in Loop: Header=BB0_2 Depth=1
	s_or_b64 exec, exec, s[0:1]
	v_mul_lo_u32 v6, v4, s24
	v_mul_lo_u32 v14, v3, s25
	v_mad_u64_u32 v[12:13], s[0:1], v3, s24, 0
	s_load_dwordx2 s[0:1], s[6:7], 0x0
	s_load_dwordx2 s[24:25], s[2:3], 0x0
	v_add3_u32 v6, v13, v14, v6
	v_sub_co_u32_e32 v10, vcc, v10, v12
	v_subb_co_u32_e32 v6, vcc, v11, v6, vcc
	s_waitcnt lgkmcnt(0)
	v_mul_lo_u32 v11, s0, v6
	v_mul_lo_u32 v12, s1, v10
	v_mad_u64_u32 v[8:9], s[0:1], s0, v10, v[8:9]
	s_add_u32 s22, s22, 1
	s_addc_u32 s23, s23, 0
	s_add_u32 s2, s2, 8
	v_mul_lo_u32 v6, s24, v6
	v_mul_lo_u32 v13, s25, v10
	v_mad_u64_u32 v[1:2], s[0:1], s24, v10, v[1:2]
	v_add3_u32 v9, v12, v9, v11
	s_addc_u32 s3, s3, 0
	v_mov_b32_e32 v10, s14
	s_add_u32 s6, s6, 8
	v_mov_b32_e32 v11, s15
	s_addc_u32 s7, s7, 0
	v_cmp_ge_u64_e32 vcc, s[22:23], v[10:11]
	s_add_u32 s20, s20, 8
	v_add3_u32 v2, v13, v2, v6
	s_addc_u32 s21, s21, 0
	s_cbranch_vccnz .LBB0_9
; %bb.7:                                ;   in Loop: Header=BB0_2 Depth=1
	v_mov_b32_e32 v11, v4
	v_mov_b32_e32 v10, v3
	s_branch .LBB0_2
.LBB0_8:
	v_mov_b32_e32 v1, v8
	v_mov_b32_e32 v3, v10
	;; [unrolled: 1-line block ×4, first 2 shown]
.LBB0_9:
	s_load_dwordx2 s[2:3], s[4:5], 0x28
	s_lshl_b64 s[6:7], s[14:15], 3
	s_add_u32 s4, s18, s6
	v_and_b32_e32 v5, 1, v7
	s_addc_u32 s5, s19, s7
	s_waitcnt lgkmcnt(0)
	v_cmp_gt_u64_e32 vcc, s[2:3], v[3:4]
	v_cmp_le_u64_e64 s[2:3], s[2:3], v[3:4]
	v_cmp_eq_u32_e64 s[0:1], 1, v5
	v_mov_b32_e32 v6, 0x2d7
                                        ; implicit-def: $vgpr5
                                        ; implicit-def: $vgpr7
	s_and_saveexec_b64 s[14:15], s[2:3]
	s_xor_b64 s[2:3], exec, s[14:15]
; %bb.10:
	s_mov_b32 s14, 0x3e0f83f
	v_mul_hi_u32 v5, v0, s14
                                        ; implicit-def: $vgpr8_vgpr9
	v_mul_u32_u24_e32 v5, 0x42, v5
	v_sub_u32_e32 v5, v0, v5
	v_add_u32_e32 v7, 0x42, v5
                                        ; implicit-def: $vgpr0
; %bb.11:
	s_or_saveexec_b64 s[2:3], s[2:3]
	v_cndmask_b32_e64 v6, 0, v6, s[0:1]
	v_lshlrev_b32_e32 v18, 2, v6
	s_xor_b64 exec, exec, s[2:3]
	s_cbranch_execz .LBB0_13
; %bb.12:
	s_add_u32 s0, s16, s6
	s_addc_u32 s1, s17, s7
	s_load_dwordx2 s[0:1], s[0:1], 0x0
	s_mov_b32 s6, 0x3e0f83f
	v_mul_hi_u32 v5, v0, s6
	s_waitcnt lgkmcnt(0)
	v_mul_lo_u32 v10, s1, v3
	v_mul_lo_u32 v11, s0, v4
	v_mad_u64_u32 v[6:7], s[0:1], s0, v3, 0
	v_mul_u32_u24_e32 v5, 0x42, v5
	v_sub_u32_e32 v5, v0, v5
	v_add3_u32 v7, v7, v11, v10
	v_lshlrev_b64 v[6:7], 2, v[6:7]
	v_mov_b32_e32 v0, s9
	v_add_co_u32_e64 v10, s[0:1], s8, v6
	v_addc_co_u32_e64 v0, s[0:1], v0, v7, s[0:1]
	v_lshlrev_b64 v[6:7], 2, v[8:9]
	v_lshlrev_b32_e32 v8, 2, v5
	v_add_co_u32_e64 v6, s[0:1], v10, v6
	v_addc_co_u32_e64 v0, s[0:1], v0, v7, s[0:1]
	v_add_co_u32_e64 v6, s[0:1], v6, v8
	v_addc_co_u32_e64 v7, s[0:1], 0, v0, s[0:1]
	global_load_dword v0, v[6:7], off
	global_load_dword v9, v[6:7], off offset:264
	global_load_dword v10, v[6:7], off offset:528
	global_load_dword v11, v[6:7], off offset:792
	global_load_dword v12, v[6:7], off offset:1056
	global_load_dword v13, v[6:7], off offset:1320
	global_load_dword v14, v[6:7], off offset:1584
	global_load_dword v15, v[6:7], off offset:1848
	global_load_dword v16, v[6:7], off offset:2112
	global_load_dword v17, v[6:7], off offset:2376
	global_load_dword v19, v[6:7], off offset:2640
	v_add_u32_e32 v7, 0x42, v5
	v_add3_u32 v6, 0, v18, v8
	v_add_u32_e32 v8, 0x400, v6
	v_add_u32_e32 v20, 0x800, v6
	s_waitcnt vmcnt(9)
	ds_write2_b32 v6, v0, v9 offset1:66
	s_waitcnt vmcnt(7)
	ds_write2_b32 v6, v10, v11 offset0:132 offset1:198
	s_waitcnt vmcnt(5)
	ds_write2_b32 v8, v12, v13 offset0:8 offset1:74
	;; [unrolled: 2-line block ×4, first 2 shown]
	s_waitcnt vmcnt(0)
	ds_write_b32 v6, v19 offset:2640
.LBB0_13:
	s_or_b64 exec, exec, s[2:3]
	v_add_u32_e32 v0, 0, v18
	v_lshlrev_b32_e32 v6, 2, v5
	v_add_u32_e32 v16, v0, v6
	s_load_dwordx2 s[2:3], s[4:5], 0x0
	s_waitcnt lgkmcnt(0)
	s_barrier
	v_add3_u32 v17, 0, v6, v18
	ds_read_b32 v14, v16
	ds_read2_b32 v[10:11], v17 offset0:66 offset1:132
	v_add_u32_e32 v19, 0x200, v17
	ds_read2_b32 v[24:25], v19 offset0:70 offset1:136
	v_add_u32_e32 v13, 0x400, v17
	;; [unrolled: 2-line block ×3, first 2 shown]
	v_add_u32_e32 v20, 0x600, v17
	ds_read2_b32 v[22:23], v15 offset0:82 offset1:148
	s_waitcnt lgkmcnt(3)
	v_pk_add_f16 v15, v14, v10
	ds_read2_b32 v[31:32], v20 offset0:78 offset1:144
	v_pk_add_f16 v15, v15, v11
	s_waitcnt lgkmcnt(3)
	v_pk_add_f16 v15, v15, v24
	v_pk_add_f16 v15, v15, v25
	s_waitcnt lgkmcnt(2)
	v_pk_add_f16 v15, v15, v8
	;; [unrolled: 3-line block ×3, first 2 shown]
	v_pk_add_f16 v15, v15, v32
	v_pk_add_f16 v15, v15, v22
	v_pk_add_f16 v27, v10, v23 neg_lo:[0,1] neg_hi:[0,1]
	s_mov_b32 s1, 0xbb47
	v_pk_add_f16 v30, v15, v23
	v_pk_add_f16 v34, v23, v10
	v_mul_f16_sdwa v23, v27, s1 dst_sel:DWORD dst_unused:UNUSED_PAD src0_sel:WORD_1 src1_sel:DWORD
	s_movk_i32 s0, 0x36a6
	v_fma_f16 v26, v34, s0, v23
	v_fma_f16 v23, v34, s0, -v23
	s_mov_b32 s5, 0xbbeb
	v_add_f16_e32 v28, v14, v23
	v_mul_f16_sdwa v23, v27, s5 dst_sel:DWORD dst_unused:UNUSED_PAD src0_sel:WORD_1 src1_sel:DWORD
	s_mov_b32 s4, 0xb08e
	v_fma_f16 v29, v34, s4, v23
	v_mul_f16_sdwa v33, v34, s4 dst_sel:DWORD dst_unused:UNUSED_PAD src0_sel:WORD_1 src1_sel:DWORD
	v_fma_f16 v23, v34, s4, -v23
	s_movk_i32 s20, 0x3beb
	v_add_f16_e32 v36, v14, v23
	v_fma_f16 v23, v27, s5, v33
	s_mov_b32 s8, 0xba0c
	v_fma_f16 v35, v27, s20, v33
	v_add_f16_sdwa v33, v14, v23 dst_sel:DWORD dst_unused:UNUSED_PAD src0_sel:WORD_1 src1_sel:DWORD
	v_mul_f16_sdwa v23, v27, s8 dst_sel:DWORD dst_unused:UNUSED_PAD src0_sel:WORD_1 src1_sel:DWORD
	s_mov_b32 s9, 0xb93d
	v_fma_f16 v37, v34, s9, v23
	v_mul_f16_sdwa v38, v34, s9 dst_sel:DWORD dst_unused:UNUSED_PAD src0_sel:WORD_1 src1_sel:DWORD
	v_fma_f16 v23, v34, s9, -v23
	s_mov_b32 s15, 0xb853
	s_movk_i32 s14, 0x3a0c
	v_add_f16_e32 v40, v14, v23
	v_fma_f16 v23, v27, s8, v38
	s_mov_b32 s16, 0xb482
	v_pk_mul_f16 v10, v27, s15 op_sel_hi:[1,0]
	s_movk_i32 s7, 0x3abb
	v_fma_f16 v39, v27, s14, v38
	v_add_f16_sdwa v38, v14, v23 dst_sel:DWORD dst_unused:UNUSED_PAD src0_sel:WORD_1 src1_sel:DWORD
	v_mul_f16_sdwa v23, v27, s16 dst_sel:DWORD dst_unused:UNUSED_PAD src0_sel:WORD_1 src1_sel:DWORD
	s_mov_b32 s17, 0xbbad
	v_pk_add_f16 v44, v11, v22 neg_lo:[0,1] neg_hi:[0,1]
	v_pk_fma_f16 v15, v34, s7, v10 op_sel:[0,0,1] op_sel_hi:[1,0,0]
	v_pk_fma_f16 v21, v34, s7, v10 op_sel:[0,0,1] op_sel_hi:[1,0,0] neg_lo:[0,0,1] neg_hi:[0,0,1]
	s_mov_b32 s6, 0xffff
	v_fma_f16 v41, v34, s17, v23
	v_fma_f16 v23, v34, s17, -v23
	v_pk_add_f16 v43, v22, v11
	v_pk_mul_f16 v11, v44, s1 op_sel_hi:[1,0]
	v_bfi_b32 v10, s6, v15, v21
	v_add_f16_e32 v42, v14, v23
	v_pk_fma_f16 v22, v43, s0, v11 op_sel:[0,0,1] op_sel_hi:[1,0,0]
	v_pk_fma_f16 v23, v43, s0, v11 op_sel:[0,0,1] op_sel_hi:[1,0,0] neg_lo:[0,0,1] neg_hi:[0,0,1]
	v_pk_add_f16 v10, v14, v10
	v_bfi_b32 v11, s6, v22, v23
	v_pk_add_f16 v10, v11, v10
	v_mul_f16_sdwa v11, v44, s8 dst_sel:DWORD dst_unused:UNUSED_PAD src0_sel:WORD_1 src1_sel:DWORD
	v_fma_f16 v45, v43, s9, v11
	v_fma_f16 v11, v43, s9, -v11
	s_movk_i32 s19, 0x3482
	v_add_f16_e32 v26, v14, v26
	v_add_f16_e32 v11, v11, v28
	v_mul_f16_sdwa v28, v44, s19 dst_sel:DWORD dst_unused:UNUSED_PAD src0_sel:WORD_1 src1_sel:DWORD
	v_add_f16_e32 v29, v14, v29
	v_add_f16_e32 v26, v45, v26
	v_fma_f16 v45, v43, s17, v28
	v_add_f16_e32 v45, v45, v29
	v_mul_f16_sdwa v29, v43, s17 dst_sel:DWORD dst_unused:UNUSED_PAD src0_sel:WORD_1 src1_sel:DWORD
	v_fma_f16 v28, v43, s17, -v28
	v_add_f16_e32 v36, v28, v36
	v_fma_f16 v28, v44, s19, v29
	v_add_f16_e32 v33, v28, v33
	v_mul_f16_sdwa v28, v44, s20 dst_sel:DWORD dst_unused:UNUSED_PAD src0_sel:WORD_1 src1_sel:DWORD
	v_add_f16_e32 v37, v14, v37
	v_fma_f16 v46, v44, s16, v29
	v_fma_f16 v29, v43, s4, v28
	v_add_f16_e32 v37, v29, v37
	v_mul_f16_sdwa v29, v43, s4 dst_sel:DWORD dst_unused:UNUSED_PAD src0_sel:WORD_1 src1_sel:DWORD
	v_fma_f16 v28, v43, s4, -v28
	v_add_f16_sdwa v35, v14, v35 dst_sel:DWORD dst_unused:UNUSED_PAD src0_sel:WORD_1 src1_sel:DWORD
	v_add_f16_e32 v40, v28, v40
	v_fma_f16 v28, v44, s20, v29
	s_movk_i32 s18, 0x3853
	v_add_f16_sdwa v39, v14, v39 dst_sel:DWORD dst_unused:UNUSED_PAD src0_sel:WORD_1 src1_sel:DWORD
	v_add_f16_e32 v35, v46, v35
	v_fma_f16 v46, v44, s5, v29
	v_add_f16_e32 v38, v28, v38
	v_mul_f16_sdwa v28, v44, s18 dst_sel:DWORD dst_unused:UNUSED_PAD src0_sel:WORD_1 src1_sel:DWORD
	v_pk_add_f16 v47, v24, v32 neg_lo:[0,1] neg_hi:[0,1]
	v_add_f16_e32 v41, v14, v41
	v_add_f16_e32 v39, v46, v39
	v_fma_f16 v29, v43, s7, v28
	v_fma_f16 v28, v43, s7, -v28
	v_pk_add_f16 v46, v32, v24
	v_pk_mul_f16 v24, v47, s5 op_sel_hi:[1,0]
	v_add_f16_e32 v41, v29, v41
	v_add_f16_e32 v42, v28, v42
	v_pk_fma_f16 v28, v46, s4, v24 op_sel:[0,0,1] op_sel_hi:[1,0,0]
	v_pk_fma_f16 v29, v46, s4, v24 op_sel:[0,0,1] op_sel_hi:[1,0,0] neg_lo:[0,0,1] neg_hi:[0,0,1]
	v_bfi_b32 v24, s6, v28, v29
	v_pk_add_f16 v10, v24, v10
	v_mul_f16_sdwa v24, v47, s19 dst_sel:DWORD dst_unused:UNUSED_PAD src0_sel:WORD_1 src1_sel:DWORD
	v_fma_f16 v32, v46, s17, v24
	v_fma_f16 v24, v46, s17, -v24
	s_movk_i32 s21, 0x3b47
	v_add_f16_e32 v11, v24, v11
	v_mul_f16_sdwa v24, v47, s21 dst_sel:DWORD dst_unused:UNUSED_PAD src0_sel:WORD_1 src1_sel:DWORD
	v_add_f16_e32 v26, v32, v26
	v_fma_f16 v32, v46, s0, v24
	v_add_f16_e32 v45, v32, v45
	v_mul_f16_sdwa v32, v46, s0 dst_sel:DWORD dst_unused:UNUSED_PAD src0_sel:WORD_1 src1_sel:DWORD
	v_fma_f16 v48, v47, s1, v32
	v_fma_f16 v32, v47, s21, v32
	v_fma_f16 v24, v46, s0, -v24
	v_add_f16_e32 v33, v32, v33
	v_mul_f16_sdwa v32, v47, s15 dst_sel:DWORD dst_unused:UNUSED_PAD src0_sel:WORD_1 src1_sel:DWORD
	v_add_f16_e32 v24, v24, v36
	v_fma_f16 v36, v46, s7, v32
	v_add_f16_e32 v36, v36, v37
	v_mul_f16_sdwa v37, v46, s7 dst_sel:DWORD dst_unused:UNUSED_PAD src0_sel:WORD_1 src1_sel:DWORD
	v_fma_f16 v32, v46, s7, -v32
	v_add_f16_e32 v40, v32, v40
	v_fma_f16 v32, v47, s15, v37
	v_add_f16_e32 v35, v48, v35
	v_fma_f16 v48, v47, s18, v37
	v_add_f16_e32 v37, v32, v38
	v_mul_f16_sdwa v32, v47, s8 dst_sel:DWORD dst_unused:UNUSED_PAD src0_sel:WORD_1 src1_sel:DWORD
	v_add_f16_e32 v39, v48, v39
	v_fma_f16 v38, v46, s9, v32
	v_fma_f16 v32, v46, s9, -v32
	v_pk_add_f16 v48, v25, v31 neg_lo:[0,1] neg_hi:[0,1]
	v_add_f16_e32 v38, v38, v41
	v_add_f16_e32 v41, v32, v42
	v_pk_add_f16 v42, v31, v25
	v_pk_mul_f16 v25, v48, s8 op_sel_hi:[1,0]
	v_pk_fma_f16 v31, v42, s9, v25 op_sel:[0,0,1] op_sel_hi:[1,0,0]
	v_pk_fma_f16 v32, v42, s9, v25 op_sel:[0,0,1] op_sel_hi:[1,0,0] neg_lo:[0,0,1] neg_hi:[0,0,1]
	v_bfi_b32 v25, s6, v31, v32
	v_pk_add_f16 v10, v25, v10
	v_mul_f16_sdwa v25, v48, s20 dst_sel:DWORD dst_unused:UNUSED_PAD src0_sel:WORD_1 src1_sel:DWORD
	v_fma_f16 v49, v42, s4, v25
	v_fma_f16 v25, v42, s4, -v25
	v_add_f16_e32 v11, v25, v11
	v_mul_f16_sdwa v25, v48, s15 dst_sel:DWORD dst_unused:UNUSED_PAD src0_sel:WORD_1 src1_sel:DWORD
	v_add_f16_e32 v26, v49, v26
	v_fma_f16 v49, v42, s7, v25
	v_add_f16_e32 v45, v49, v45
	v_mul_f16_sdwa v49, v42, s7 dst_sel:DWORD dst_unused:UNUSED_PAD src0_sel:WORD_1 src1_sel:DWORD
	v_fma_f16 v25, v42, s7, -v25
	v_add_f16_e32 v24, v25, v24
	v_fma_f16 v25, v48, s15, v49
	v_add_f16_e32 v25, v25, v33
	v_mul_f16_sdwa v33, v48, s16 dst_sel:DWORD dst_unused:UNUSED_PAD src0_sel:WORD_1 src1_sel:DWORD
	v_fma_f16 v50, v48, s18, v49
	v_fma_f16 v49, v42, s17, v33
	v_add_f16_e32 v36, v49, v36
	v_mul_f16_sdwa v49, v42, s17 dst_sel:DWORD dst_unused:UNUSED_PAD src0_sel:WORD_1 src1_sel:DWORD
	v_fma_f16 v33, v42, s17, -v33
	v_add_f16_e32 v40, v33, v40
	v_fma_f16 v33, v48, s16, v49
	v_add_f16_e32 v35, v50, v35
	v_fma_f16 v50, v48, s19, v49
	v_add_f16_e32 v37, v33, v37
	v_mul_f16_sdwa v33, v48, s21 dst_sel:DWORD dst_unused:UNUSED_PAD src0_sel:WORD_1 src1_sel:DWORD
	v_add_f16_e32 v39, v50, v39
	v_fma_f16 v49, v42, s0, v33
	v_pk_add_f16 v50, v8, v9 neg_lo:[0,1] neg_hi:[0,1]
	v_add_f16_e32 v38, v49, v38
	v_fma_f16 v33, v42, s0, -v33
	v_pk_add_f16 v49, v9, v8
	v_pk_mul_f16 v8, v50, s16 op_sel_hi:[1,0]
	v_add_f16_e32 v41, v33, v41
	v_pk_fma_f16 v9, v49, s17, v8 op_sel:[0,0,1] op_sel_hi:[1,0,0]
	v_pk_fma_f16 v33, v49, s17, v8 op_sel:[0,0,1] op_sel_hi:[1,0,0] neg_lo:[0,0,1] neg_hi:[0,0,1]
	v_bfi_b32 v8, s6, v9, v33
	v_pk_add_f16 v51, v8, v10
	v_mul_f16_sdwa v8, v50, s18 dst_sel:DWORD dst_unused:UNUSED_PAD src0_sel:WORD_1 src1_sel:DWORD
	v_fma_f16 v10, v49, s7, v8
	v_add_f16_e32 v52, v10, v26
	v_fma_f16 v8, v49, s7, -v8
	v_mul_f16_sdwa v10, v50, s8 dst_sel:DWORD dst_unused:UNUSED_PAD src0_sel:WORD_1 src1_sel:DWORD
	v_add_f16_e32 v8, v8, v11
	v_fma_f16 v11, v49, s9, v10
	v_mul_f16_sdwa v26, v49, s9 dst_sel:DWORD dst_unused:UNUSED_PAD src0_sel:WORD_1 src1_sel:DWORD
	v_add_f16_e32 v45, v11, v45
	v_fma_f16 v11, v50, s14, v26
	v_fma_f16 v10, v49, s9, -v10
	v_add_f16_e32 v35, v11, v35
	v_add_f16_e32 v11, v10, v24
	v_fma_f16 v10, v50, s8, v26
	v_add_f16_e32 v25, v10, v25
	v_mul_f16_sdwa v10, v50, s21 dst_sel:DWORD dst_unused:UNUSED_PAD src0_sel:WORD_1 src1_sel:DWORD
	v_fma_f16 v24, v49, s0, v10
	v_add_f16_e32 v36, v24, v36
	v_mul_f16_sdwa v24, v49, s0 dst_sel:DWORD dst_unused:UNUSED_PAD src0_sel:WORD_1 src1_sel:DWORD
	v_fma_f16 v26, v50, s1, v24
	v_fma_f16 v24, v50, s21, v24
	v_add_f16_e32 v39, v26, v39
	v_fma_f16 v10, v49, s0, -v10
	v_add_f16_e32 v26, v24, v37
	v_mul_f16_sdwa v24, v50, s5 dst_sel:DWORD dst_unused:UNUSED_PAD src0_sel:WORD_1 src1_sel:DWORD
	s_mov_b32 s0, 0xbbad36a6
	v_fma_f16 v37, v49, s4, v24
	v_pk_mul_f16 v34, v34, s0 op_sel:[1,0]
	s_mov_b32 s0, 0xb482bb47
	v_add_f16_e32 v37, v37, v38
	v_pk_fma_f16 v38, v27, s0, v34 op_sel_hi:[0,1,1] neg_lo:[1,0,0] neg_hi:[1,0,0]
	v_pk_fma_f16 v27, v27, s0, v34 op_sel_hi:[0,1,1]
	s_mov_b32 s0, 0x3abbb93d
	v_pk_mul_f16 v34, v43, s0 op_sel:[1,0]
	s_mov_b32 s0, 0x3853ba0c
	v_add_f16_e32 v10, v10, v40
	v_pk_add_f16 v27, v14, v27 op_sel:[1,0]
	v_pk_fma_f16 v40, v44, s0, v34 op_sel_hi:[0,1,1] neg_lo:[1,0,0] neg_hi:[1,0,0]
	v_pk_fma_f16 v34, v44, s0, v34 op_sel_hi:[0,1,1]
	s_mov_b32 s0, 0xb93dbbad
	v_fma_f16 v24, v49, s4, -v24
	v_pk_add_f16 v27, v34, v27
	v_pk_mul_f16 v34, v46, s0 op_sel:[1,0]
	s_mov_b32 s0, 0xba0c3482
	v_add_f16_e32 v24, v24, v41
	v_pk_fma_f16 v41, v47, s0, v34 op_sel_hi:[0,1,1] neg_lo:[1,0,0] neg_hi:[1,0,0]
	v_pk_fma_f16 v34, v47, s0, v34 op_sel_hi:[0,1,1]
	s_mov_b32 s0, 0x36a6b08e
	v_pk_add_f16 v27, v34, v27
	v_pk_mul_f16 v34, v42, s0 op_sel:[1,0]
	s_mov_b32 s0, 0x3b473beb
	v_add_f16_sdwa v44, v14, v38 dst_sel:DWORD dst_unused:UNUSED_PAD src0_sel:WORD_1 src1_sel:DWORD
	v_pk_fma_f16 v42, v48, s0, v34 op_sel_hi:[0,1,1] neg_lo:[1,0,0] neg_hi:[1,0,0]
	v_pk_fma_f16 v34, v48, s0, v34 op_sel_hi:[0,1,1]
	s_mov_b32 s0, 0xb08e3abb
	v_add_f16_e32 v44, v40, v44
	v_add_f16_sdwa v38, v14, v38 dst_sel:DWORD dst_unused:UNUSED_PAD src0_sel:WORD_1 src1_sel:WORD_1
	v_pk_add_f16 v27, v34, v27
	v_pk_mul_f16 v34, v49, s0 op_sel:[1,0]
	s_mov_b32 s0, 0xbbeb3853
	v_add_f16_e32 v44, v41, v44
	v_add_f16_sdwa v38, v40, v38 dst_sel:DWORD dst_unused:UNUSED_PAD src0_sel:WORD_1 src1_sel:DWORD
	v_pk_fma_f16 v43, v50, s0, v34 op_sel_hi:[0,1,1] neg_lo:[1,0,0] neg_hi:[1,0,0]
	v_add_f16_e32 v44, v42, v44
	v_add_f16_sdwa v38, v41, v38 dst_sel:DWORD dst_unused:UNUSED_PAD src0_sel:WORD_1 src1_sel:DWORD
	v_bfi_b32 v15, s6, v21, v15
	v_mad_u32_u24 v12, v5, 40, v17
	v_add_f16_e32 v44, v43, v44
	v_add_f16_sdwa v38, v42, v38 dst_sel:DWORD dst_unused:UNUSED_PAD src0_sel:WORD_1 src1_sel:DWORD
	v_pk_fma_f16 v34, v50, s0, v34 op_sel_hi:[0,1,1]
	v_pk_add_f16 v14, v14, v15
	v_bfi_b32 v15, s6, v23, v22
	s_barrier
	v_add_f16_sdwa v38, v43, v38 dst_sel:DWORD dst_unused:UNUSED_PAD src0_sel:WORD_1 src1_sel:DWORD
	v_pk_add_f16 v27, v34, v27
	ds_write2_b32 v12, v30, v51 offset1:1
	v_pack_b32_f16 v30, v45, v35
	v_pack_b32_f16 v34, v52, v44
	v_pk_add_f16 v14, v15, v14
	v_bfi_b32 v15, s6, v29, v28
	ds_write2_b32 v12, v34, v30 offset0:2 offset1:3
	v_pack_b32_f16 v30, v37, v38
	v_pack_b32_f16 v34, v36, v39
	v_pk_add_f16 v14, v15, v14
	v_bfi_b32 v15, s6, v32, v31
	ds_write2_b32 v12, v34, v30 offset0:4 offset1:5
	v_bfi_b32 v30, s6, v24, v27
	v_pack_b32_f16 v34, v10, v26
	v_pk_add_f16 v14, v15, v14
	v_bfi_b32 v9, s6, v33, v9
	ds_write2_b32 v12, v30, v34 offset0:6 offset1:7
	v_pack_b32_f16 v30, v8, v27
	v_pack_b32_f16 v34, v11, v25
	v_pk_add_f16 v9, v9, v14
	ds_write2_b32 v12, v34, v30 offset0:8 offset1:9
	ds_write_b32 v12, v9 offset:40
	s_waitcnt lgkmcnt(0)
	s_barrier
	ds_read2_b32 v[14:15], v17 offset0:121 offset1:242
	ds_read2_b32 v[12:13], v13 offset0:107 offset1:228
	ds_read_b32 v29, v16
	ds_read_b32 v30, v17 offset:2420
	v_cmp_gt_u32_e64 s[0:1], 55, v5
	v_lshrrev_b32_e32 v28, 16, v9
	v_lshlrev_b32_e32 v21, 2, v7
                                        ; implicit-def: $vgpr23
                                        ; implicit-def: $vgpr22
	s_and_saveexec_b64 s[4:5], s[0:1]
	s_cbranch_execz .LBB0_15
; %bb.14:
	v_add3_u32 v23, 0, v21, v18
	ds_read2_b32 v[8:9], v20 offset0:45 offset1:166
	ds_read_b32 v22, v17 offset:2684
	ds_read2_b32 v[10:11], v19 offset0:59 offset1:180
	ds_read_b32 v24, v23
	ds_read_u16 v19, v17 offset:1718
	s_waitcnt lgkmcnt(4)
	v_lshrrev_b32_e32 v28, 16, v9
	s_waitcnt lgkmcnt(3)
	v_lshrrev_b32_e32 v23, 16, v22
	s_waitcnt lgkmcnt(2)
	v_lshrrev_b32_e32 v26, 16, v10
	v_lshrrev_b32_e32 v25, 16, v11
	s_waitcnt lgkmcnt(0)
	v_bfi_b32 v27, s6, v19, v24
.LBB0_15:
	s_or_b64 exec, exec, s[4:5]
	s_movk_i32 s8, 0x75
	v_mul_lo_u16_sdwa v19, v5, s8 dst_sel:DWORD dst_unused:UNUSED_PAD src0_sel:BYTE_0 src1_sel:DWORD
	v_sub_u16_sdwa v20, v5, v19 dst_sel:DWORD dst_unused:UNUSED_PAD src0_sel:DWORD src1_sel:BYTE_1
	v_lshrrev_b16_e32 v20, 1, v20
	v_and_b32_e32 v20, 0x7f, v20
	v_add_u16_sdwa v19, v20, v19 dst_sel:DWORD dst_unused:UNUSED_PAD src0_sel:DWORD src1_sel:BYTE_1
	v_lshrrev_b16_e32 v35, 3, v19
	v_mul_lo_u16_e32 v19, 11, v35
	v_sub_u16_e32 v36, v5, v19
	v_mov_b32_e32 v19, 5
	v_mul_u32_u24_sdwa v20, v36, v19 dst_sel:DWORD dst_unused:UNUSED_PAD src0_sel:BYTE_0 src1_sel:DWORD
	v_lshlrev_b32_e32 v20, 2, v20
	global_load_dwordx4 v[31:34], v20, s[12:13]
	global_load_dword v37, v20, s[12:13] offset:16
	s_movk_i32 s9, 0x108
	v_mov_b32_e32 v20, 2
	s_waitcnt lgkmcnt(3)
	v_lshrrev_b32_e32 v39, 16, v14
	s_waitcnt lgkmcnt(2)
	v_lshrrev_b32_e32 v41, 16, v12
	v_mad_u32_u24 v35, v35, s9, 0
	v_lshlrev_b32_sdwa v36, v20, v36 dst_sel:DWORD dst_unused:UNUSED_PAD src0_sel:DWORD src1_sel:BYTE_0
	v_lshrrev_b32_e32 v40, 16, v15
	v_lshrrev_b32_e32 v42, 16, v13
	s_waitcnt lgkmcnt(0)
	v_lshrrev_b32_e32 v43, 16, v30
	v_add3_u32 v35, v35, v36, v18
	v_lshrrev_b32_e32 v38, 16, v29
	s_movk_i32 s6, 0x3aee
	s_mov_b32 s7, 0xbaee
	s_waitcnt vmcnt(0)
	s_barrier
	v_mul_f16_sdwa v36, v31, v39 dst_sel:DWORD dst_unused:UNUSED_PAD src0_sel:WORD_1 src1_sel:DWORD
	v_mul_f16_sdwa v44, v31, v14 dst_sel:DWORD dst_unused:UNUSED_PAD src0_sel:WORD_1 src1_sel:DWORD
	;; [unrolled: 1-line block ×10, first 2 shown]
	v_fma_f16 v14, v31, v14, v36
	v_fma_f16 v31, v31, v39, -v44
	v_fma_f16 v12, v33, v12, v47
	v_fma_f16 v33, v33, v41, -v48
	v_fma_f16 v36, v37, v43, -v52
	v_fma_f16 v15, v32, v15, v45
	v_fma_f16 v32, v32, v40, -v46
	v_fma_f16 v13, v34, v13, v49
	;; [unrolled: 2-line block ×3, first 2 shown]
	v_sub_f16_e32 v44, v33, v36
	v_add_f16_e32 v45, v31, v33
	v_add_f16_e32 v33, v33, v36
	;; [unrolled: 1-line block ×3, first 2 shown]
	v_sub_f16_e32 v40, v32, v34
	v_add_f16_e32 v41, v38, v32
	v_add_f16_e32 v32, v32, v34
	;; [unrolled: 1-line block ×4, first 2 shown]
	v_sub_f16_e32 v12, v12, v30
	v_fma_f16 v31, v33, -0.5, v31
	v_add_f16_e32 v39, v15, v13
	v_sub_f16_e32 v15, v15, v13
	v_add_f16_e32 v13, v37, v13
	v_add_f16_e32 v34, v41, v34
	v_fma_f16 v32, v32, -0.5, v38
	v_add_f16_e32 v30, v42, v30
	v_fma_f16 v14, v43, -0.5, v14
	v_add_f16_e32 v36, v45, v36
	v_fma_f16 v38, v12, s6, v31
	v_fma_f16 v29, v39, -0.5, v29
	v_fma_f16 v37, v15, s6, v32
	v_fma_f16 v15, v15, s7, v32
	;; [unrolled: 1-line block ×4, first 2 shown]
	v_add_f16_e32 v31, v13, v30
	v_add_f16_e32 v39, v34, v36
	v_sub_f16_e32 v13, v13, v30
	v_sub_f16_e32 v30, v34, v36
	v_mul_f16_e32 v34, 0xbaee, v38
	v_mul_f16_e32 v38, 0.5, v38
	v_fma_f16 v33, v40, s7, v29
	v_fma_f16 v14, v44, s6, v14
	v_mul_f16_e32 v36, 0xbaee, v12
	v_mul_f16_e32 v12, -0.5, v12
	v_fma_f16 v34, v32, 0.5, v34
	v_fma_f16 v32, v32, s6, v38
	v_fma_f16 v29, v40, s6, v29
	v_pack_b32_f16 v31, v31, v39
	v_fma_f16 v36, v14, -0.5, v36
	v_fma_f16 v12, v14, s6, v12
	v_add_f16_e32 v14, v33, v34
	v_add_f16_e32 v39, v37, v32
	;; [unrolled: 1-line block ×4, first 2 shown]
	v_pack_b32_f16 v14, v14, v39
	v_sub_f16_e32 v33, v33, v34
	v_sub_f16_e32 v29, v29, v36
	;; [unrolled: 1-line block ×4, first 2 shown]
	ds_write2_b32 v35, v31, v14 offset1:11
	v_pack_b32_f16 v14, v38, v40
	v_pack_b32_f16 v13, v13, v30
	ds_write2_b32 v35, v14, v13 offset0:22 offset1:33
	v_pack_b32_f16 v13, v33, v32
	v_pack_b32_f16 v12, v29, v12
	ds_write2_b32 v35, v13, v12 offset0:44 offset1:55
	s_and_saveexec_b64 s[4:5], s[0:1]
	s_cbranch_execz .LBB0_17
; %bb.16:
	v_mul_lo_u16_sdwa v12, v7, s8 dst_sel:DWORD dst_unused:UNUSED_PAD src0_sel:BYTE_0 src1_sel:DWORD
	v_sub_u16_sdwa v13, v7, v12 dst_sel:DWORD dst_unused:UNUSED_PAD src0_sel:DWORD src1_sel:BYTE_1
	v_lshrrev_b16_e32 v13, 1, v13
	v_and_b32_e32 v13, 0x7f, v13
	v_add_u16_sdwa v12, v13, v12 dst_sel:DWORD dst_unused:UNUSED_PAD src0_sel:DWORD src1_sel:BYTE_1
	v_lshrrev_b16_e32 v29, 3, v12
	v_mul_lo_u16_e32 v12, 11, v29
	v_sub_u16_e32 v30, v7, v12
	v_mul_u32_u24_sdwa v12, v30, v19 dst_sel:DWORD dst_unused:UNUSED_PAD src0_sel:BYTE_0 src1_sel:DWORD
	v_lshlrev_b32_e32 v19, 2, v12
	global_load_dwordx4 v[12:15], v19, s[12:13]
	global_load_dword v31, v19, s[12:13] offset:16
	v_mad_u32_u24 v29, v29, s9, 0
	v_lshlrev_b32_sdwa v20, v20, v30 dst_sel:DWORD dst_unused:UNUSED_PAD src0_sel:DWORD src1_sel:BYTE_0
	v_add3_u32 v20, v29, v20, v18
	v_lshrrev_b32_e32 v19, 16, v27
	s_waitcnt vmcnt(1)
	v_mul_f16_sdwa v30, v9, v15 dst_sel:DWORD dst_unused:UNUSED_PAD src0_sel:DWORD src1_sel:WORD_1
	v_mul_f16_sdwa v33, v28, v15 dst_sel:DWORD dst_unused:UNUSED_PAD src0_sel:DWORD src1_sel:WORD_1
	;; [unrolled: 1-line block ×4, first 2 shown]
	s_waitcnt vmcnt(0)
	v_mul_f16_sdwa v38, v22, v31 dst_sel:DWORD dst_unused:UNUSED_PAD src0_sel:DWORD src1_sel:WORD_1
	v_mul_f16_sdwa v29, v11, v13 dst_sel:DWORD dst_unused:UNUSED_PAD src0_sel:DWORD src1_sel:WORD_1
	v_mul_f16_sdwa v32, v25, v13 dst_sel:DWORD dst_unused:UNUSED_PAD src0_sel:DWORD src1_sel:WORD_1
	v_mul_f16_sdwa v34, v26, v12 dst_sel:DWORD dst_unused:UNUSED_PAD src0_sel:DWORD src1_sel:WORD_1
	v_mul_f16_sdwa v36, v23, v31 dst_sel:DWORD dst_unused:UNUSED_PAD src0_sel:DWORD src1_sel:WORD_1
	v_mul_f16_sdwa v39, v10, v12 dst_sel:DWORD dst_unused:UNUSED_PAD src0_sel:DWORD src1_sel:WORD_1
	v_fma_f16 v28, v28, v15, -v30
	v_fma_f16 v9, v9, v15, v33
	v_fma_f16 v8, v8, v14, v35
	v_fma_f16 v14, v27, v14, -v37
	v_fma_f16 v15, v23, v31, -v38
	;; [unrolled: 1-line block ×3, first 2 shown]
	v_fma_f16 v11, v11, v13, v32
	v_fma_f16 v10, v10, v12, v34
	;; [unrolled: 1-line block ×3, first 2 shown]
	v_fma_f16 v12, v26, v12, -v39
	v_add_f16_e32 v29, v14, v15
	v_add_f16_e32 v22, v25, v28
	v_sub_f16_e32 v23, v11, v9
	v_add_f16_e32 v26, v8, v13
	v_sub_f16_e32 v27, v14, v15
	v_sub_f16_e32 v30, v8, v13
	v_add_f16_e32 v31, v19, v25
	v_add_f16_e32 v14, v12, v14
	;; [unrolled: 1-line block ×5, first 2 shown]
	v_fma_f16 v12, v29, -0.5, v12
	v_sub_f16_e32 v25, v25, v28
	v_fma_f16 v19, v22, -0.5, v19
	v_fma_f16 v10, v26, -0.5, v10
	v_add_f16_e32 v22, v31, v28
	v_add_f16_e32 v14, v14, v15
	v_fma_f16 v15, v32, -0.5, v24
	v_add_f16_e32 v9, v11, v9
	v_add_f16_e32 v8, v8, v13
	v_fma_f16 v24, v30, s7, v12
	v_fma_f16 v12, v30, s6, v12
	v_fma_f16 v11, v23, s7, v19
	v_fma_f16 v13, v27, s6, v10
	v_fma_f16 v19, v23, s6, v19
	v_fma_f16 v10, v27, s7, v10
	v_sub_f16_e32 v23, v22, v14
	v_fma_f16 v26, v25, s6, v15
	v_fma_f16 v15, v25, s7, v15
	v_sub_f16_e32 v25, v9, v8
	v_add_f16_e32 v14, v22, v14
	v_add_f16_e32 v8, v9, v8
	v_mul_f16_e32 v9, -0.5, v24
	v_mul_f16_e32 v22, 0.5, v12
	v_mul_f16_e32 v12, 0xbaee, v12
	v_mul_f16_e32 v24, 0xbaee, v24
	v_fma_f16 v9, v13, s6, v9
	v_fma_f16 v22, v10, s6, v22
	v_fma_f16 v10, v10, 0.5, v12
	v_pack_b32_f16 v8, v8, v14
	v_pack_b32_f16 v14, v25, v23
	v_fma_f16 v13, v13, -0.5, v24
	v_sub_f16_e32 v12, v11, v9
	v_sub_f16_e32 v25, v15, v10
	v_add_f16_e32 v9, v11, v9
	v_add_f16_e32 v11, v19, v22
	;; [unrolled: 1-line block ×3, first 2 shown]
	v_sub_f16_e32 v23, v19, v22
	v_sub_f16_e32 v24, v26, v13
	v_add_f16_e32 v13, v26, v13
	v_pack_b32_f16 v10, v10, v11
	v_pack_b32_f16 v9, v13, v9
	;; [unrolled: 1-line block ×4, first 2 shown]
	ds_write2_b32 v20, v8, v10 offset1:11
	ds_write2_b32 v20, v9, v14 offset0:22 offset1:33
	ds_write2_b32 v20, v11, v12 offset0:44 offset1:55
.LBB0_17:
	s_or_b64 exec, exec, s[4:5]
	v_mul_u32_u24_e32 v8, 10, v5
	v_lshlrev_b32_e32 v22, 2, v8
	s_waitcnt lgkmcnt(0)
	s_barrier
	global_load_dwordx4 v[8:11], v22, s[12:13] offset:220
	global_load_dwordx4 v[12:15], v22, s[12:13] offset:236
	global_load_dwordx2 v[19:20], v22, s[12:13] offset:252
	v_add3_u32 v18, 0, v21, v18
	v_add_u32_e32 v29, 0x400, v17
	ds_read2_b32 v[21:22], v17 offset0:132 offset1:198
	ds_read_b32 v30, v16
	ds_read_u16 v31, v17 offset:1322
	v_add_u32_e32 v32, 0x800, v17
	ds_read2_b32 v[23:24], v29 offset0:8 offset1:74
	ds_read2_b32 v[25:26], v29 offset0:140 offset1:206
	;; [unrolled: 1-line block ×3, first 2 shown]
	ds_read_b32 v18, v18
	ds_read_b32 v33, v17 offset:2640
	s_waitcnt lgkmcnt(4)
	v_lshrrev_b32_e32 v42, 16, v23
	v_lshrrev_b32_e32 v34, 16, v21
	;; [unrolled: 1-line block ×3, first 2 shown]
	s_waitcnt lgkmcnt(1)
	v_lshrrev_b32_e32 v41, 16, v18
	s_waitcnt lgkmcnt(0)
	v_lshrrev_b32_e32 v40, 16, v33
	v_lshrrev_b32_e32 v36, 16, v25
	v_lshrrev_b32_e32 v37, 16, v26
	v_lshrrev_b32_e32 v38, 16, v27
	v_lshrrev_b32_e32 v39, 16, v28
	s_mov_b32 s0, 0xb853
	s_movk_i32 s8, 0x3abb
	s_movk_i32 s9, 0x3853
	s_mov_b32 s4, 0xbb47
	s_movk_i32 s5, 0x36a6
	s_movk_i32 s6, 0x3b47
	s_mov_b32 s1, 0xbbeb
	s_mov_b32 s7, 0xb08e
	s_movk_i32 s14, 0x3beb
	s_mov_b32 s15, 0xba0c
	s_mov_b32 s16, 0xb93d
	s_movk_i32 s17, 0x3a0c
	s_mov_b32 s18, 0xb482
	s_mov_b32 s19, 0xbbad
	s_movk_i32 s20, 0x3482
	s_waitcnt vmcnt(0)
	s_barrier
	v_mul_f16_sdwa v43, v8, v41 dst_sel:DWORD dst_unused:UNUSED_PAD src0_sel:WORD_1 src1_sel:DWORD
	v_mul_f16_sdwa v44, v8, v18 dst_sel:DWORD dst_unused:UNUSED_PAD src0_sel:WORD_1 src1_sel:DWORD
	;; [unrolled: 1-line block ×4, first 2 shown]
	v_fma_f16 v18, v8, v18, v43
	v_fma_f16 v8, v8, v41, -v44
	v_mul_f16_sdwa v47, v10, v35 dst_sel:DWORD dst_unused:UNUSED_PAD src0_sel:WORD_1 src1_sel:DWORD
	v_mul_f16_sdwa v48, v10, v22 dst_sel:DWORD dst_unused:UNUSED_PAD src0_sel:WORD_1 src1_sel:DWORD
	v_mul_f16_sdwa v51, v31, v12 dst_sel:DWORD dst_unused:UNUSED_PAD src0_sel:DWORD src1_sel:WORD_1
	v_mul_f16_sdwa v52, v12, v24 dst_sel:DWORD dst_unused:UNUSED_PAD src0_sel:WORD_1 src1_sel:DWORD
	v_mul_f16_sdwa v61, v40, v20 dst_sel:DWORD dst_unused:UNUSED_PAD src0_sel:DWORD src1_sel:WORD_1
	v_fma_f16 v21, v9, v21, v45
	v_fma_f16 v9, v9, v34, -v46
	v_add_f16_sdwa v34, v8, v30 dst_sel:DWORD dst_unused:UNUSED_PAD src0_sel:DWORD src1_sel:WORD_1
	v_mul_f16_sdwa v49, v11, v42 dst_sel:DWORD dst_unused:UNUSED_PAD src0_sel:WORD_1 src1_sel:DWORD
	v_mul_f16_sdwa v50, v11, v23 dst_sel:DWORD dst_unused:UNUSED_PAD src0_sel:WORD_1 src1_sel:DWORD
	v_mul_f16_sdwa v62, v33, v20 dst_sel:DWORD dst_unused:UNUSED_PAD src0_sel:DWORD src1_sel:WORD_1
	v_fma_f16 v22, v10, v22, v47
	v_fma_f16 v10, v10, v35, -v48
	v_fma_f16 v24, v12, v24, v51
	v_fma_f16 v12, v31, v12, -v52
	v_fma_f16 v31, v33, v20, v61
	v_add_f16_e32 v33, v18, v30
	v_add_f16_e32 v34, v34, v9
	v_fma_f16 v23, v11, v23, v49
	v_fma_f16 v11, v11, v42, -v50
	v_add_f16_e32 v33, v33, v21
	v_add_f16_e32 v34, v34, v10
	v_mul_f16_sdwa v53, v36, v13 dst_sel:DWORD dst_unused:UNUSED_PAD src0_sel:DWORD src1_sel:WORD_1
	v_mul_f16_sdwa v54, v25, v13 dst_sel:DWORD dst_unused:UNUSED_PAD src0_sel:DWORD src1_sel:WORD_1
	v_add_f16_e32 v33, v33, v22
	v_add_f16_e32 v34, v34, v11
	v_mul_f16_sdwa v55, v37, v14 dst_sel:DWORD dst_unused:UNUSED_PAD src0_sel:DWORD src1_sel:WORD_1
	v_mul_f16_sdwa v56, v26, v14 dst_sel:DWORD dst_unused:UNUSED_PAD src0_sel:DWORD src1_sel:WORD_1
	v_fma_f16 v25, v25, v13, v53
	v_fma_f16 v13, v36, v13, -v54
	v_add_f16_e32 v33, v33, v23
	v_add_f16_e32 v34, v34, v12
	v_mul_f16_sdwa v57, v38, v15 dst_sel:DWORD dst_unused:UNUSED_PAD src0_sel:DWORD src1_sel:WORD_1
	v_mul_f16_sdwa v58, v27, v15 dst_sel:DWORD dst_unused:UNUSED_PAD src0_sel:DWORD src1_sel:WORD_1
	v_fma_f16 v26, v26, v14, v55
	v_fma_f16 v14, v37, v14, -v56
	;; [unrolled: 6-line block ×3, first 2 shown]
	v_add_f16_e32 v33, v33, v25
	v_add_f16_e32 v34, v34, v14
	v_fma_f16 v28, v28, v19, v59
	v_fma_f16 v19, v39, v19, -v60
	v_fma_f16 v20, v40, v20, -v62
	v_add_f16_e32 v33, v33, v26
	v_add_f16_e32 v34, v34, v15
	;; [unrolled: 1-line block ×3, first 2 shown]
	v_sub_f16_e32 v8, v8, v20
	v_add_f16_e32 v33, v33, v27
	v_add_f16_e32 v34, v34, v19
	;; [unrolled: 1-line block ×3, first 2 shown]
	v_sub_f16_e32 v18, v18, v31
	v_mul_f16_e32 v37, 0xb853, v8
	v_add_f16_e32 v33, v33, v28
	v_add_f16_e32 v20, v34, v20
	v_mul_f16_e32 v34, 0x3abb, v36
	v_mul_f16_e32 v39, 0xbb47, v8
	v_mul_f16_e32 v41, 0x36a6, v36
	v_mul_f16_e32 v43, 0xbbeb, v8
	v_mul_f16_e32 v45, 0xb08e, v36
	v_mul_f16_e32 v47, 0xba0c, v8
	v_mul_f16_e32 v49, 0xb93d, v36
	v_mul_f16_e32 v8, 0xb482, v8
	v_mul_f16_e32 v36, 0xbbad, v36
	v_add_f16_e32 v31, v33, v31
	v_fma_f16 v33, v35, s8, v37
	v_fma_f16 v38, v18, s9, v34
	v_fma_f16 v37, v35, s8, -v37
	v_fma_f16 v34, v18, s0, v34
	v_fma_f16 v40, v35, s5, v39
	v_fma_f16 v42, v18, s6, v41
	v_fma_f16 v39, v35, s5, -v39
	v_fma_f16 v41, v18, s4, v41
	;; [unrolled: 4-line block ×5, first 2 shown]
	v_add_f16_e32 v35, v9, v19
	v_sub_f16_e32 v9, v9, v19
	v_add_f16_e32 v33, v33, v30
	v_add_f16_sdwa v38, v38, v30 dst_sel:DWORD dst_unused:UNUSED_PAD src0_sel:DWORD src1_sel:WORD_1
	v_add_f16_e32 v37, v37, v30
	v_add_f16_sdwa v34, v34, v30 dst_sel:DWORD dst_unused:UNUSED_PAD src0_sel:DWORD src1_sel:WORD_1
	;; [unrolled: 2-line block ×10, first 2 shown]
	v_add_f16_e32 v30, v21, v28
	v_mul_f16_e32 v19, 0xbb47, v9
	v_sub_f16_e32 v21, v21, v28
	v_fma_f16 v28, v30, s5, v19
	v_add_f16_e32 v28, v28, v33
	v_mul_f16_e32 v33, 0x36a6, v35
	v_fma_f16 v36, v21, s6, v33
	v_fma_f16 v33, v21, s4, v33
	v_fma_f16 v19, v30, s5, -v19
	v_add_f16_e32 v33, v33, v34
	v_mul_f16_e32 v34, 0xba0c, v9
	v_add_f16_e32 v36, v36, v38
	v_add_f16_e32 v19, v19, v37
	v_fma_f16 v37, v30, s16, v34
	v_mul_f16_e32 v38, 0xb93d, v35
	v_fma_f16 v34, v30, s16, -v34
	v_add_f16_e32 v37, v37, v40
	v_fma_f16 v40, v21, s17, v38
	v_add_f16_e32 v34, v34, v39
	v_fma_f16 v38, v21, s15, v38
	v_mul_f16_e32 v39, 0x3482, v9
	v_add_f16_e32 v40, v40, v42
	v_add_f16_e32 v38, v38, v41
	v_fma_f16 v41, v30, s19, v39
	v_mul_f16_e32 v42, 0xbbad, v35
	v_fma_f16 v39, v30, s19, -v39
	v_add_f16_e32 v41, v41, v44
	v_fma_f16 v44, v21, s18, v42
	v_add_f16_e32 v39, v39, v43
	v_fma_f16 v42, v21, s20, v42
	v_mul_f16_e32 v43, 0x3beb, v9
	v_add_f16_e32 v44, v44, v46
	v_add_f16_e32 v42, v42, v45
	v_fma_f16 v45, v30, s7, v43
	v_mul_f16_e32 v46, 0xb08e, v35
	v_fma_f16 v43, v30, s7, -v43
	v_mul_f16_e32 v9, 0x3853, v9
	v_add_f16_e32 v45, v45, v48
	v_fma_f16 v48, v21, s1, v46
	v_add_f16_e32 v43, v43, v47
	v_fma_f16 v46, v21, s14, v46
	v_fma_f16 v47, v30, s8, v9
	v_mul_f16_e32 v35, 0x3abb, v35
	v_fma_f16 v9, v30, s8, -v9
	v_add_f16_e32 v46, v46, v49
	v_fma_f16 v49, v21, s0, v35
	v_add_f16_e32 v8, v9, v8
	v_fma_f16 v9, v21, s9, v35
	v_add_f16_e32 v21, v10, v15
	v_sub_f16_e32 v10, v10, v15
	v_add_f16_e32 v9, v9, v18
	v_add_f16_e32 v18, v22, v27
	v_mul_f16_e32 v15, 0xbbeb, v10
	v_sub_f16_e32 v22, v22, v27
	v_fma_f16 v27, v18, s7, v15
	v_add_f16_e32 v27, v27, v28
	v_mul_f16_e32 v28, 0xb08e, v21
	v_fma_f16 v15, v18, s7, -v15
	v_fma_f16 v30, v22, s14, v28
	v_add_f16_e32 v15, v15, v19
	v_fma_f16 v19, v22, s1, v28
	v_mul_f16_e32 v28, 0x3482, v10
	v_add_f16_e32 v19, v19, v33
	v_fma_f16 v33, v18, s19, v28
	v_mul_f16_e32 v35, 0xbbad, v21
	v_fma_f16 v28, v18, s19, -v28
	v_add_f16_e32 v30, v30, v36
	v_fma_f16 v36, v22, s18, v35
	v_add_f16_e32 v28, v28, v34
	v_fma_f16 v34, v22, s20, v35
	v_mul_f16_e32 v35, 0x3b47, v10
	v_add_f16_e32 v33, v33, v37
	v_fma_f16 v37, v18, s5, v35
	v_fma_f16 v35, v18, s5, -v35
	v_add_f16_e32 v34, v34, v38
	v_mul_f16_e32 v38, 0x36a6, v21
	v_add_f16_e32 v35, v35, v39
	v_mul_f16_e32 v39, 0xb853, v10
	v_add_f16_e32 v36, v36, v40
	v_add_f16_e32 v37, v37, v41
	v_fma_f16 v40, v22, s4, v38
	v_fma_f16 v38, v22, s6, v38
	v_fma_f16 v41, v18, s8, v39
	v_fma_f16 v39, v18, s8, -v39
	v_mul_f16_e32 v10, 0xba0c, v10
	v_add_f16_e32 v38, v38, v42
	v_mul_f16_e32 v42, 0x3abb, v21
	v_add_f16_e32 v39, v39, v43
	v_fma_f16 v43, v18, s16, v10
	v_mul_f16_e32 v21, 0xb93d, v21
	v_fma_f16 v10, v18, s16, -v10
	v_add_f16_e32 v8, v10, v8
	v_fma_f16 v10, v22, s15, v21
	v_add_f16_e32 v18, v11, v14
	v_sub_f16_e32 v11, v11, v14
	v_add_f16_e32 v9, v10, v9
	v_add_f16_e32 v10, v23, v26
	v_mul_f16_e32 v14, 0xba0c, v11
	v_add_f16_e32 v40, v40, v44
	v_add_f16_e32 v41, v41, v45
	v_fma_f16 v44, v22, s9, v42
	v_fma_f16 v42, v22, s0, v42
	;; [unrolled: 1-line block ×3, first 2 shown]
	v_sub_f16_e32 v21, v23, v26
	v_fma_f16 v22, v10, s16, v14
	v_mul_f16_e32 v23, 0xb93d, v18
	v_fma_f16 v14, v10, s16, -v14
	v_add_f16_e32 v14, v14, v15
	v_fma_f16 v15, v21, s15, v23
	v_add_f16_e32 v15, v15, v19
	v_mul_f16_e32 v19, 0x3beb, v11
	v_fma_f16 v26, v21, s17, v23
	v_fma_f16 v23, v10, s7, v19
	v_fma_f16 v19, v10, s7, -v19
	v_add_f16_e32 v22, v22, v27
	v_mul_f16_e32 v27, 0xb08e, v18
	v_add_f16_e32 v19, v19, v28
	v_mul_f16_e32 v28, 0xb853, v11
	v_add_f16_e32 v26, v26, v30
	v_add_f16_e32 v23, v23, v33
	v_fma_f16 v30, v21, s1, v27
	v_fma_f16 v27, v21, s14, v27
	;; [unrolled: 1-line block ×3, first 2 shown]
	v_fma_f16 v28, v10, s8, -v28
	v_add_f16_e32 v27, v27, v34
	v_mul_f16_e32 v34, 0x3abb, v18
	v_add_f16_e32 v28, v28, v35
	v_mul_f16_e32 v35, 0xb482, v11
	v_add_f16_e32 v30, v30, v36
	v_add_f16_e32 v33, v33, v37
	v_fma_f16 v36, v21, s9, v34
	v_fma_f16 v34, v21, s0, v34
	;; [unrolled: 1-line block ×3, first 2 shown]
	v_fma_f16 v35, v10, s19, -v35
	v_mul_f16_e32 v11, 0x3b47, v11
	v_add_f16_e32 v34, v34, v38
	v_mul_f16_e32 v38, 0xbbad, v18
	v_add_f16_e32 v35, v35, v39
	v_fma_f16 v39, v10, s5, v11
	v_mul_f16_e32 v18, 0x36a6, v18
	v_fma_f16 v10, v10, s5, -v11
	v_add_f16_e32 v8, v10, v8
	v_fma_f16 v10, v21, s6, v18
	v_add_f16_e32 v11, v12, v13
	v_sub_f16_e32 v12, v12, v13
	v_add_f16_e32 v9, v10, v9
	v_add_f16_e32 v10, v24, v25
	v_mul_f16_e32 v13, 0xb482, v12
	v_add_f16_e32 v36, v36, v40
	v_add_f16_e32 v37, v37, v41
	v_fma_f16 v40, v21, s20, v38
	v_fma_f16 v38, v21, s18, v38
	;; [unrolled: 1-line block ×4, first 2 shown]
	v_sub_f16_e32 v18, v24, v25
	v_add_f16_e32 v21, v21, v22
	v_mul_f16_e32 v22, 0xbbad, v11
	v_fma_f16 v13, v10, s19, -v13
	v_add_f16_e32 v13, v13, v14
	v_fma_f16 v14, v18, s18, v22
	v_add_f16_e32 v14, v14, v15
	v_mul_f16_e32 v15, 0x3853, v12
	v_fma_f16 v24, v18, s20, v22
	v_fma_f16 v22, v10, s8, v15
	v_add_f16_e32 v22, v22, v23
	v_mul_f16_e32 v23, 0x3abb, v11
	v_fma_f16 v15, v10, s8, -v15
	v_fma_f16 v25, v18, s0, v23
	v_add_f16_e32 v15, v15, v19
	v_fma_f16 v19, v18, s9, v23
	v_mul_f16_e32 v23, 0xba0c, v12
	v_add_f16_e32 v24, v24, v26
	v_fma_f16 v26, v10, s16, v23
	v_fma_f16 v23, v10, s16, -v23
	v_add_f16_e32 v19, v19, v27
	v_mul_f16_e32 v27, 0xb93d, v11
	v_add_f16_e32 v23, v23, v28
	v_mul_f16_e32 v28, 0x3b47, v12
	v_add_f16_e32 v25, v25, v30
	v_add_f16_e32 v26, v26, v33
	v_fma_f16 v30, v18, s17, v27
	v_fma_f16 v27, v18, s15, v27
	;; [unrolled: 1-line block ×3, first 2 shown]
	v_fma_f16 v28, v10, s5, -v28
	v_mul_f16_e32 v12, 0xbbeb, v12
	v_add_f16_e32 v42, v42, v46
	v_add_f16_e32 v27, v27, v34
	v_mul_f16_e32 v34, 0x36a6, v11
	v_add_f16_e32 v28, v28, v35
	v_fma_f16 v35, v10, s7, v12
	v_mul_f16_e32 v11, 0xb08e, v11
	v_fma_f16 v10, v10, s7, -v12
	v_add_f16_e32 v48, v48, v50
	v_add_f16_e32 v47, v47, v51
	;; [unrolled: 1-line block ×5, first 2 shown]
	v_fma_f16 v36, v18, s4, v34
	v_fma_f16 v34, v18, s6, v34
	v_add_f16_e32 v8, v10, v8
	v_fma_f16 v10, v18, s1, v11
	v_add_f16_e32 v44, v44, v48
	v_add_f16_e32 v43, v43, v47
	;; [unrolled: 1-line block ×9, first 2 shown]
	v_fma_f16 v37, v18, s14, v11
	v_pack_b32_f16 v10, v31, v20
	v_pack_b32_f16 v11, v21, v24
	;; [unrolled: 1-line block ×4, first 2 shown]
	v_add_f16_e32 v36, v36, v40
	v_add_f16_e32 v35, v35, v39
	v_add_f16_e32 v37, v37, v41
	ds_write2_b32 v17, v10, v11 offset1:66
	v_pack_b32_f16 v10, v22, v25
	v_pack_b32_f16 v11, v26, v30
	ds_write2_b32 v29, v8, v9 offset0:140 offset1:206
	v_pack_b32_f16 v8, v23, v27
	v_pack_b32_f16 v9, v15, v19
	ds_write2_b32 v17, v10, v11 offset0:132 offset1:198
	;; [unrolled: 3-line block ×3, first 2 shown]
	v_pack_b32_f16 v8, v13, v14
	ds_write2_b32 v29, v10, v11 offset0:8 offset1:74
	ds_write_b32 v17, v8 offset:2640
	s_waitcnt lgkmcnt(0)
	s_barrier
	ds_read_b32 v8, v16
	v_sub_u32_e32 v11, v0, v6
	v_cmp_ne_u32_e64 s[0:1], 0, v5
                                        ; implicit-def: $vgpr14
                                        ; implicit-def: $vgpr12
                                        ; implicit-def: $vgpr13
                                        ; implicit-def: $vgpr9_vgpr10
	s_and_saveexec_b64 s[4:5], s[0:1]
	s_xor_b64 s[4:5], exec, s[4:5]
	s_cbranch_execz .LBB0_19
; %bb.18:
	v_mov_b32_e32 v6, 0
	v_lshlrev_b64 v[9:10], 2, v[5:6]
	v_mov_b32_e32 v12, s13
	v_add_co_u32_e64 v9, s[0:1], s12, v9
	v_addc_co_u32_e64 v10, s[0:1], v12, v10, s[0:1]
	global_load_dword v9, v[9:10], off offset:2860
	ds_read_b32 v10, v11 offset:2904
	s_waitcnt lgkmcnt(0)
	v_add_f16_sdwa v13, v10, v8 dst_sel:DWORD dst_unused:UNUSED_PAD src0_sel:WORD_1 src1_sel:WORD_1
	v_sub_f16_e32 v14, v8, v10
	v_add_f16_e32 v12, v10, v8
	v_sub_f16_sdwa v8, v8, v10 dst_sel:DWORD dst_unused:UNUSED_PAD src0_sel:WORD_1 src1_sel:WORD_1
	v_mul_f16_e32 v10, 0.5, v13
	v_mul_f16_e32 v14, 0.5, v14
	;; [unrolled: 1-line block ×3, first 2 shown]
	s_waitcnt vmcnt(0)
	v_lshrrev_b32_e32 v13, 16, v9
	v_mul_f16_e32 v15, v13, v14
	v_fma_f16 v17, v10, v13, v8
	v_fma_f16 v8, v10, v13, -v8
	v_fma_f16 v18, v12, 0.5, v15
	v_fma_f16 v12, v12, 0.5, -v15
	v_fma_f16 v13, -v9, v14, v17
	v_fma_f16 v14, -v9, v14, v8
	v_fma_f16 v8, v9, v10, v18
	v_fma_f16 v12, -v9, v10, v12
	v_mov_b32_e32 v10, v6
	ds_write_b16 v16, v8
	v_mov_b32_e32 v9, v5
                                        ; implicit-def: $vgpr8
.LBB0_19:
	s_andn2_saveexec_b64 s[0:1], s[4:5]
	s_cbranch_execz .LBB0_21
; %bb.20:
	ds_read_u16 v6, v0 offset:1454
	s_waitcnt lgkmcnt(1)
	v_add_f16_sdwa v13, v8, v8 dst_sel:DWORD dst_unused:UNUSED_PAD src0_sel:WORD_1 src1_sel:DWORD
	v_mov_b32_e32 v9, 0
	v_sub_f16_sdwa v12, v8, v8 dst_sel:DWORD dst_unused:UNUSED_PAD src0_sel:DWORD src1_sel:WORD_1
	v_mov_b32_e32 v10, 0
	ds_write_b16 v16, v13
	s_waitcnt lgkmcnt(1)
	v_xor_b32_e32 v6, 0x8000, v6
	v_mov_b32_e32 v13, 0
	v_mov_b32_e32 v14, 0
	ds_write_b16 v0, v6 offset:1454
.LBB0_21:
	s_or_b64 exec, exec, s[0:1]
	s_waitcnt lgkmcnt(0)
	v_mov_b32_e32 v8, 0
	v_lshlrev_b64 v[17:18], 2, v[7:8]
	v_mov_b32_e32 v6, s13
	v_add_co_u32_e64 v17, s[0:1], s12, v17
	v_addc_co_u32_e64 v18, s[0:1], v6, v18, s[0:1]
	global_load_dword v6, v[17:18], off offset:2860
	s_add_u32 s0, s12, 0xb2c
	v_lshlrev_b64 v[8:9], 2, v[9:10]
	s_addc_u32 s1, s13, 0
	v_mov_b32_e32 v10, s1
	v_add_co_u32_e64 v8, s[0:1], s0, v8
	v_addc_co_u32_e64 v9, s[0:1], v10, v9, s[0:1]
	global_load_dword v10, v[8:9], off offset:528
	global_load_dword v15, v[8:9], off offset:792
	s_mov_b32 s0, 0x5040100
	v_perm_b32 v12, v14, v12, s0
	global_load_dword v14, v[8:9], off offset:1056
	ds_write_b16 v16, v13 offset:2
	v_lshl_add_u32 v7, v7, 2, v0
	ds_write_b32 v11, v12 offset:2904
	ds_read_b32 v13, v11 offset:2640
	ds_read_b32 v12, v7
	s_mov_b32 s6, 0xffff
	v_cmp_gt_u32_e64 s[0:1], 33, v5
	s_waitcnt lgkmcnt(0)
	v_pk_add_f16 v17, v12, v13 neg_lo:[0,1] neg_hi:[0,1]
	v_pk_add_f16 v12, v12, v13
	v_bfi_b32 v13, s6, v17, v12
	v_bfi_b32 v12, s6, v12, v17
	v_pk_mul_f16 v13, v13, 0.5 op_sel_hi:[1,0]
	v_pk_mul_f16 v12, v12, 0.5 op_sel_hi:[1,0]
	s_waitcnt vmcnt(3)
	v_pk_fma_f16 v17, v6, v13, v12 op_sel:[1,0,0]
	v_pk_mul_f16 v18, v6, v13 op_sel_hi:[0,1]
	v_pk_fma_f16 v19, v6, v13, v12 op_sel:[1,0,0] neg_lo:[1,0,0] neg_hi:[1,0,0]
	v_pk_fma_f16 v6, v6, v13, v12 op_sel:[1,0,0] neg_lo:[0,0,1] neg_hi:[0,0,1]
	v_pk_add_f16 v12, v17, v18 op_sel:[0,1] op_sel_hi:[1,0]
	v_pk_add_f16 v13, v17, v18 op_sel:[0,1] op_sel_hi:[1,0] neg_lo:[0,1] neg_hi:[0,1]
	v_pk_add_f16 v17, v19, v18 op_sel:[0,1] op_sel_hi:[1,0] neg_lo:[0,1] neg_hi:[0,1]
	;; [unrolled: 1-line block ×3, first 2 shown]
	v_bfi_b32 v12, s6, v12, v13
	v_bfi_b32 v6, s6, v17, v6
	ds_write_b32 v7, v12
	ds_write_b32 v11, v6 offset:2640
	ds_read_b32 v6, v16 offset:528
	ds_read_b32 v7, v11 offset:2376
	s_waitcnt lgkmcnt(0)
	v_pk_add_f16 v12, v6, v7 neg_lo:[0,1] neg_hi:[0,1]
	v_pk_add_f16 v6, v6, v7
	v_bfi_b32 v7, s6, v12, v6
	v_bfi_b32 v6, s6, v6, v12
	v_pk_mul_f16 v7, v7, 0.5 op_sel_hi:[1,0]
	v_pk_mul_f16 v6, v6, 0.5 op_sel_hi:[1,0]
	s_waitcnt vmcnt(2)
	v_pk_fma_f16 v12, v10, v7, v6 op_sel:[1,0,0]
	v_pk_mul_f16 v13, v10, v7 op_sel_hi:[0,1]
	v_pk_fma_f16 v17, v10, v7, v6 op_sel:[1,0,0] neg_lo:[1,0,0] neg_hi:[1,0,0]
	v_pk_fma_f16 v6, v10, v7, v6 op_sel:[1,0,0] neg_lo:[0,0,1] neg_hi:[0,0,1]
	v_pk_add_f16 v7, v12, v13 op_sel:[0,1] op_sel_hi:[1,0]
	v_pk_add_f16 v10, v12, v13 op_sel:[0,1] op_sel_hi:[1,0] neg_lo:[0,1] neg_hi:[0,1]
	v_pk_add_f16 v12, v17, v13 op_sel:[0,1] op_sel_hi:[1,0] neg_lo:[0,1] neg_hi:[0,1]
	v_pk_add_f16 v6, v6, v13 op_sel:[0,1] op_sel_hi:[1,0] neg_lo:[0,1] neg_hi:[0,1]
	v_bfi_b32 v7, s6, v7, v10
	v_bfi_b32 v6, s6, v12, v6
	ds_write_b32 v16, v7 offset:528
	ds_write_b32 v11, v6 offset:2376
	ds_read_b32 v6, v16 offset:792
	ds_read_b32 v7, v11 offset:2112
	s_waitcnt lgkmcnt(0)
	v_pk_add_f16 v10, v6, v7 neg_lo:[0,1] neg_hi:[0,1]
	v_pk_add_f16 v6, v6, v7
	v_bfi_b32 v7, s6, v10, v6
	v_bfi_b32 v6, s6, v6, v10
	v_pk_mul_f16 v7, v7, 0.5 op_sel_hi:[1,0]
	v_pk_mul_f16 v6, v6, 0.5 op_sel_hi:[1,0]
	s_waitcnt vmcnt(1)
	v_pk_fma_f16 v10, v15, v7, v6 op_sel:[1,0,0]
	v_pk_mul_f16 v12, v15, v7 op_sel_hi:[0,1]
	v_pk_fma_f16 v13, v15, v7, v6 op_sel:[1,0,0] neg_lo:[1,0,0] neg_hi:[1,0,0]
	v_pk_fma_f16 v6, v15, v7, v6 op_sel:[1,0,0] neg_lo:[0,0,1] neg_hi:[0,0,1]
	v_pk_add_f16 v7, v10, v12 op_sel:[0,1] op_sel_hi:[1,0]
	v_pk_add_f16 v10, v10, v12 op_sel:[0,1] op_sel_hi:[1,0] neg_lo:[0,1] neg_hi:[0,1]
	v_pk_add_f16 v13, v13, v12 op_sel:[0,1] op_sel_hi:[1,0] neg_lo:[0,1] neg_hi:[0,1]
	v_pk_add_f16 v6, v6, v12 op_sel:[0,1] op_sel_hi:[1,0] neg_lo:[0,1] neg_hi:[0,1]
	v_bfi_b32 v7, s6, v7, v10
	v_bfi_b32 v6, s6, v13, v6
	ds_write_b32 v16, v7 offset:792
	;; [unrolled: 22-line block ×3, first 2 shown]
	ds_write_b32 v11, v6 offset:1848
	s_and_saveexec_b64 s[4:5], s[0:1]
	s_cbranch_execz .LBB0_23
; %bb.22:
	global_load_dword v6, v[8:9], off offset:1320
	ds_read_b32 v7, v16 offset:1320
	ds_read_b32 v8, v11 offset:1584
	s_waitcnt lgkmcnt(0)
	v_pk_add_f16 v9, v7, v8 neg_lo:[0,1] neg_hi:[0,1]
	v_pk_add_f16 v7, v7, v8
	v_bfi_b32 v8, s6, v9, v7
	v_bfi_b32 v7, s6, v7, v9
	v_pk_mul_f16 v8, v8, 0.5 op_sel_hi:[1,0]
	v_pk_mul_f16 v7, v7, 0.5 op_sel_hi:[1,0]
	s_waitcnt vmcnt(0)
	v_pk_fma_f16 v9, v6, v8, v7 op_sel:[1,0,0]
	v_pk_mul_f16 v10, v6, v8 op_sel_hi:[0,1]
	v_pk_fma_f16 v12, v6, v8, v7 op_sel:[1,0,0] neg_lo:[1,0,0] neg_hi:[1,0,0]
	v_pk_fma_f16 v6, v6, v8, v7 op_sel:[1,0,0] neg_lo:[0,0,1] neg_hi:[0,0,1]
	v_pk_add_f16 v7, v9, v10 op_sel:[0,1] op_sel_hi:[1,0]
	v_pk_add_f16 v8, v9, v10 op_sel:[0,1] op_sel_hi:[1,0] neg_lo:[0,1] neg_hi:[0,1]
	v_pk_add_f16 v9, v12, v10 op_sel:[0,1] op_sel_hi:[1,0] neg_lo:[0,1] neg_hi:[0,1]
	;; [unrolled: 1-line block ×3, first 2 shown]
	v_bfi_b32 v7, s6, v7, v8
	v_bfi_b32 v6, s6, v9, v6
	ds_write_b32 v16, v7 offset:1320
	ds_write_b32 v11, v6 offset:1584
.LBB0_23:
	s_or_b64 exec, exec, s[4:5]
	s_waitcnt lgkmcnt(0)
	s_barrier
	s_and_saveexec_b64 s[0:1], vcc
	s_cbranch_execz .LBB0_26
; %bb.24:
	v_mul_lo_u32 v6, s3, v3
	v_mul_lo_u32 v4, s2, v4
	v_mad_u64_u32 v[7:8], s[0:1], s2, v3, 0
	v_lshl_add_u32 v3, v5, 2, v0
	v_mov_b32_e32 v0, s11
	v_add3_u32 v8, v8, v4, v6
	v_lshlrev_b64 v[7:8], 2, v[7:8]
	v_mov_b32_e32 v6, 0
	v_add_co_u32_e32 v4, vcc, s10, v7
	v_addc_co_u32_e32 v7, vcc, v0, v8, vcc
	v_lshlrev_b64 v[0:1], 2, v[1:2]
	ds_read2_b32 v[9:10], v3 offset1:66
	v_add_co_u32_e32 v0, vcc, v4, v0
	v_addc_co_u32_e32 v1, vcc, v7, v1, vcc
	v_lshlrev_b64 v[7:8], 2, v[5:6]
	v_add_u32_e32 v2, 0x400, v3
	v_add_co_u32_e32 v7, vcc, v0, v7
	v_addc_co_u32_e32 v8, vcc, v1, v8, vcc
	s_waitcnt lgkmcnt(0)
	global_store_dword v[7:8], v9, off
	v_add_u32_e32 v7, 0x42, v5
	v_mov_b32_e32 v8, v6
	v_lshlrev_b64 v[7:8], 2, v[7:8]
	s_movk_i32 s0, 0x41
	v_add_co_u32_e32 v7, vcc, v0, v7
	v_addc_co_u32_e32 v8, vcc, v1, v8, vcc
	global_store_dword v[7:8], v10, off
	v_add_u32_e32 v7, 0x84, v5
	v_mov_b32_e32 v8, v6
	ds_read2_b32 v[9:10], v3 offset0:132 offset1:198
	v_lshlrev_b64 v[7:8], 2, v[7:8]
	v_add_co_u32_e32 v7, vcc, v0, v7
	v_addc_co_u32_e32 v8, vcc, v1, v8, vcc
	s_waitcnt lgkmcnt(0)
	global_store_dword v[7:8], v9, off
	v_add_u32_e32 v7, 0xc6, v5
	v_mov_b32_e32 v8, v6
	v_lshlrev_b64 v[7:8], 2, v[7:8]
	v_add_co_u32_e32 v7, vcc, v0, v7
	v_addc_co_u32_e32 v8, vcc, v1, v8, vcc
	global_store_dword v[7:8], v10, off
	v_add_u32_e32 v7, 0x108, v5
	v_mov_b32_e32 v8, v6
	ds_read2_b32 v[9:10], v2 offset0:8 offset1:74
	v_lshlrev_b64 v[7:8], 2, v[7:8]
	v_add_co_u32_e32 v7, vcc, v0, v7
	v_addc_co_u32_e32 v8, vcc, v1, v8, vcc
	s_waitcnt lgkmcnt(0)
	global_store_dword v[7:8], v9, off
	v_add_u32_e32 v7, 0x14a, v5
	v_mov_b32_e32 v8, v6
	v_lshlrev_b64 v[7:8], 2, v[7:8]
	v_add_co_u32_e32 v7, vcc, v0, v7
	v_addc_co_u32_e32 v8, vcc, v1, v8, vcc
	global_store_dword v[7:8], v10, off
	v_add_u32_e32 v7, 0x18c, v5
	v_mov_b32_e32 v8, v6
	ds_read2_b32 v[9:10], v2 offset0:140 offset1:206
	v_lshlrev_b64 v[7:8], 2, v[7:8]
	v_add_u32_e32 v2, 0x800, v3
	v_add_co_u32_e32 v7, vcc, v0, v7
	v_addc_co_u32_e32 v8, vcc, v1, v8, vcc
	s_waitcnt lgkmcnt(0)
	global_store_dword v[7:8], v9, off
	v_add_u32_e32 v7, 0x1ce, v5
	v_mov_b32_e32 v8, v6
	v_lshlrev_b64 v[7:8], 2, v[7:8]
	v_add_co_u32_e32 v7, vcc, v0, v7
	v_addc_co_u32_e32 v8, vcc, v1, v8, vcc
	global_store_dword v[7:8], v10, off
	v_add_u32_e32 v7, 0x210, v5
	v_mov_b32_e32 v8, v6
	ds_read2_b32 v[9:10], v2 offset0:16 offset1:82
	v_lshlrev_b64 v[7:8], 2, v[7:8]
	ds_read_b32 v2, v3 offset:2640
	v_add_co_u32_e32 v7, vcc, v0, v7
	v_addc_co_u32_e32 v8, vcc, v1, v8, vcc
	s_waitcnt lgkmcnt(1)
	global_store_dword v[7:8], v9, off
	v_add_u32_e32 v7, 0x252, v5
	v_mov_b32_e32 v8, v6
	v_lshlrev_b64 v[7:8], 2, v[7:8]
	v_add_co_u32_e32 v7, vcc, v0, v7
	v_addc_co_u32_e32 v8, vcc, v1, v8, vcc
	global_store_dword v[7:8], v10, off
	v_add_u32_e32 v7, 0x294, v5
	v_mov_b32_e32 v8, v6
	v_lshlrev_b64 v[6:7], 2, v[7:8]
	v_add_co_u32_e32 v6, vcc, v0, v6
	v_addc_co_u32_e32 v7, vcc, v1, v7, vcc
	v_cmp_eq_u32_e32 vcc, s0, v5
	s_waitcnt lgkmcnt(0)
	global_store_dword v[6:7], v2, off
	s_and_b64 exec, exec, vcc
	s_cbranch_execz .LBB0_26
; %bb.25:
	ds_read_b32 v2, v3 offset:2644
	s_waitcnt lgkmcnt(0)
	global_store_dword v[0:1], v2, off offset:2904
.LBB0_26:
	s_endpgm
	.section	.rodata,"a",@progbits
	.p2align	6, 0x0
	.amdhsa_kernel fft_rtc_back_len726_factors_11_6_11_wgs_132_tpt_66_half_op_CI_CI_unitstride_sbrr_R2C_dirReg
		.amdhsa_group_segment_fixed_size 0
		.amdhsa_private_segment_fixed_size 0
		.amdhsa_kernarg_size 104
		.amdhsa_user_sgpr_count 6
		.amdhsa_user_sgpr_private_segment_buffer 1
		.amdhsa_user_sgpr_dispatch_ptr 0
		.amdhsa_user_sgpr_queue_ptr 0
		.amdhsa_user_sgpr_kernarg_segment_ptr 1
		.amdhsa_user_sgpr_dispatch_id 0
		.amdhsa_user_sgpr_flat_scratch_init 0
		.amdhsa_user_sgpr_private_segment_size 0
		.amdhsa_uses_dynamic_stack 0
		.amdhsa_system_sgpr_private_segment_wavefront_offset 0
		.amdhsa_system_sgpr_workgroup_id_x 1
		.amdhsa_system_sgpr_workgroup_id_y 0
		.amdhsa_system_sgpr_workgroup_id_z 0
		.amdhsa_system_sgpr_workgroup_info 0
		.amdhsa_system_vgpr_workitem_id 0
		.amdhsa_next_free_vgpr 63
		.amdhsa_next_free_sgpr 28
		.amdhsa_reserve_vcc 1
		.amdhsa_reserve_flat_scratch 0
		.amdhsa_float_round_mode_32 0
		.amdhsa_float_round_mode_16_64 0
		.amdhsa_float_denorm_mode_32 3
		.amdhsa_float_denorm_mode_16_64 3
		.amdhsa_dx10_clamp 1
		.amdhsa_ieee_mode 1
		.amdhsa_fp16_overflow 0
		.amdhsa_exception_fp_ieee_invalid_op 0
		.amdhsa_exception_fp_denorm_src 0
		.amdhsa_exception_fp_ieee_div_zero 0
		.amdhsa_exception_fp_ieee_overflow 0
		.amdhsa_exception_fp_ieee_underflow 0
		.amdhsa_exception_fp_ieee_inexact 0
		.amdhsa_exception_int_div_zero 0
	.end_amdhsa_kernel
	.text
.Lfunc_end0:
	.size	fft_rtc_back_len726_factors_11_6_11_wgs_132_tpt_66_half_op_CI_CI_unitstride_sbrr_R2C_dirReg, .Lfunc_end0-fft_rtc_back_len726_factors_11_6_11_wgs_132_tpt_66_half_op_CI_CI_unitstride_sbrr_R2C_dirReg
                                        ; -- End function
	.section	.AMDGPU.csdata,"",@progbits
; Kernel info:
; codeLenInByte = 9552
; NumSgprs: 32
; NumVgprs: 63
; ScratchSize: 0
; MemoryBound: 0
; FloatMode: 240
; IeeeMode: 1
; LDSByteSize: 0 bytes/workgroup (compile time only)
; SGPRBlocks: 3
; VGPRBlocks: 15
; NumSGPRsForWavesPerEU: 32
; NumVGPRsForWavesPerEU: 63
; Occupancy: 4
; WaveLimiterHint : 1
; COMPUTE_PGM_RSRC2:SCRATCH_EN: 0
; COMPUTE_PGM_RSRC2:USER_SGPR: 6
; COMPUTE_PGM_RSRC2:TRAP_HANDLER: 0
; COMPUTE_PGM_RSRC2:TGID_X_EN: 1
; COMPUTE_PGM_RSRC2:TGID_Y_EN: 0
; COMPUTE_PGM_RSRC2:TGID_Z_EN: 0
; COMPUTE_PGM_RSRC2:TIDIG_COMP_CNT: 0
	.type	__hip_cuid_a48761a49ea7db6a,@object ; @__hip_cuid_a48761a49ea7db6a
	.section	.bss,"aw",@nobits
	.globl	__hip_cuid_a48761a49ea7db6a
__hip_cuid_a48761a49ea7db6a:
	.byte	0                               ; 0x0
	.size	__hip_cuid_a48761a49ea7db6a, 1

	.ident	"AMD clang version 19.0.0git (https://github.com/RadeonOpenCompute/llvm-project roc-6.4.0 25133 c7fe45cf4b819c5991fe208aaa96edf142730f1d)"
	.section	".note.GNU-stack","",@progbits
	.addrsig
	.addrsig_sym __hip_cuid_a48761a49ea7db6a
	.amdgpu_metadata
---
amdhsa.kernels:
  - .args:
      - .actual_access:  read_only
        .address_space:  global
        .offset:         0
        .size:           8
        .value_kind:     global_buffer
      - .offset:         8
        .size:           8
        .value_kind:     by_value
      - .actual_access:  read_only
        .address_space:  global
        .offset:         16
        .size:           8
        .value_kind:     global_buffer
      - .actual_access:  read_only
        .address_space:  global
        .offset:         24
        .size:           8
        .value_kind:     global_buffer
      - .actual_access:  read_only
        .address_space:  global
        .offset:         32
        .size:           8
        .value_kind:     global_buffer
      - .offset:         40
        .size:           8
        .value_kind:     by_value
      - .actual_access:  read_only
        .address_space:  global
        .offset:         48
        .size:           8
        .value_kind:     global_buffer
      - .actual_access:  read_only
        .address_space:  global
        .offset:         56
        .size:           8
        .value_kind:     global_buffer
      - .offset:         64
        .size:           4
        .value_kind:     by_value
      - .actual_access:  read_only
        .address_space:  global
        .offset:         72
        .size:           8
        .value_kind:     global_buffer
      - .actual_access:  read_only
        .address_space:  global
        .offset:         80
        .size:           8
        .value_kind:     global_buffer
      - .actual_access:  read_only
        .address_space:  global
        .offset:         88
        .size:           8
        .value_kind:     global_buffer
      - .actual_access:  write_only
        .address_space:  global
        .offset:         96
        .size:           8
        .value_kind:     global_buffer
    .group_segment_fixed_size: 0
    .kernarg_segment_align: 8
    .kernarg_segment_size: 104
    .language:       OpenCL C
    .language_version:
      - 2
      - 0
    .max_flat_workgroup_size: 132
    .name:           fft_rtc_back_len726_factors_11_6_11_wgs_132_tpt_66_half_op_CI_CI_unitstride_sbrr_R2C_dirReg
    .private_segment_fixed_size: 0
    .sgpr_count:     32
    .sgpr_spill_count: 0
    .symbol:         fft_rtc_back_len726_factors_11_6_11_wgs_132_tpt_66_half_op_CI_CI_unitstride_sbrr_R2C_dirReg.kd
    .uniform_work_group_size: 1
    .uses_dynamic_stack: false
    .vgpr_count:     63
    .vgpr_spill_count: 0
    .wavefront_size: 64
amdhsa.target:   amdgcn-amd-amdhsa--gfx906
amdhsa.version:
  - 1
  - 2
...

	.end_amdgpu_metadata
